;; amdgpu-corpus repo=ROCm/rocFFT kind=compiled arch=gfx950 opt=O3
	.text
	.amdgcn_target "amdgcn-amd-amdhsa--gfx950"
	.amdhsa_code_object_version 6
	.protected	fft_rtc_back_len275_factors_11_5_5_wgs_55_tpt_55_half_ip_CI_unitstride_sbrr_dirReg ; -- Begin function fft_rtc_back_len275_factors_11_5_5_wgs_55_tpt_55_half_ip_CI_unitstride_sbrr_dirReg
	.globl	fft_rtc_back_len275_factors_11_5_5_wgs_55_tpt_55_half_ip_CI_unitstride_sbrr_dirReg
	.p2align	8
	.type	fft_rtc_back_len275_factors_11_5_5_wgs_55_tpt_55_half_ip_CI_unitstride_sbrr_dirReg,@function
fft_rtc_back_len275_factors_11_5_5_wgs_55_tpt_55_half_ip_CI_unitstride_sbrr_dirReg: ; @fft_rtc_back_len275_factors_11_5_5_wgs_55_tpt_55_half_ip_CI_unitstride_sbrr_dirReg
; %bb.0:
	s_load_dwordx2 s[8:9], s[0:1], 0x50
	s_load_dwordx4 s[4:7], s[0:1], 0x0
	s_load_dwordx2 s[10:11], s[0:1], 0x18
	v_mul_u32_u24_e32 v1, 0x4a8, v0
	v_add_u32_sdwa v6, s2, v1 dst_sel:DWORD dst_unused:UNUSED_PAD src0_sel:DWORD src1_sel:WORD_1
	v_mov_b32_e32 v4, 0
	s_waitcnt lgkmcnt(0)
	v_cmp_lt_u64_e64 s[2:3], s[6:7], 2
	v_mov_b32_e32 v7, v4
	s_and_b64 vcc, exec, s[2:3]
	v_mov_b64_e32 v[2:3], 0
	s_cbranch_vccnz .LBB0_8
; %bb.1:
	s_load_dwordx2 s[2:3], s[0:1], 0x10
	s_add_u32 s12, s10, 8
	s_addc_u32 s13, s11, 0
	s_mov_b64 s[14:15], 1
	v_mov_b64_e32 v[2:3], 0
	s_waitcnt lgkmcnt(0)
	s_add_u32 s16, s2, 8
	s_addc_u32 s17, s3, 0
.LBB0_2:                                ; =>This Inner Loop Header: Depth=1
	s_load_dwordx2 s[18:19], s[16:17], 0x0
                                        ; implicit-def: $vgpr8_vgpr9
	s_waitcnt lgkmcnt(0)
	v_or_b32_e32 v5, s19, v7
	v_cmp_ne_u64_e32 vcc, 0, v[4:5]
	s_and_saveexec_b64 s[2:3], vcc
	s_xor_b64 s[20:21], exec, s[2:3]
	s_cbranch_execz .LBB0_4
; %bb.3:                                ;   in Loop: Header=BB0_2 Depth=1
	v_cvt_f32_u32_e32 v1, s18
	v_cvt_f32_u32_e32 v5, s19
	s_sub_u32 s2, 0, s18
	s_subb_u32 s3, 0, s19
	v_fmac_f32_e32 v1, 0x4f800000, v5
	v_rcp_f32_e32 v1, v1
	s_nop 0
	v_mul_f32_e32 v1, 0x5f7ffffc, v1
	v_mul_f32_e32 v5, 0x2f800000, v1
	v_trunc_f32_e32 v5, v5
	v_fmac_f32_e32 v1, 0xcf800000, v5
	v_cvt_u32_f32_e32 v5, v5
	v_cvt_u32_f32_e32 v1, v1
	v_mul_lo_u32 v8, s2, v5
	v_mul_hi_u32 v10, s2, v1
	v_mul_lo_u32 v9, s3, v1
	v_add_u32_e32 v10, v10, v8
	v_mul_lo_u32 v12, s2, v1
	v_add_u32_e32 v13, v10, v9
	v_mul_hi_u32 v8, v1, v12
	v_mul_hi_u32 v11, v1, v13
	v_mul_lo_u32 v10, v1, v13
	v_mov_b32_e32 v9, v4
	v_lshl_add_u64 v[8:9], v[8:9], 0, v[10:11]
	v_mul_hi_u32 v11, v5, v12
	v_mul_lo_u32 v12, v5, v12
	v_add_co_u32_e32 v8, vcc, v8, v12
	v_mul_hi_u32 v10, v5, v13
	s_nop 0
	v_addc_co_u32_e32 v8, vcc, v9, v11, vcc
	v_mov_b32_e32 v9, v4
	s_nop 0
	v_addc_co_u32_e32 v11, vcc, 0, v10, vcc
	v_mul_lo_u32 v10, v5, v13
	v_lshl_add_u64 v[8:9], v[8:9], 0, v[10:11]
	v_add_co_u32_e32 v1, vcc, v1, v8
	v_mul_lo_u32 v10, s2, v1
	s_nop 0
	v_addc_co_u32_e32 v5, vcc, v5, v9, vcc
	v_mul_lo_u32 v8, s2, v5
	v_mul_hi_u32 v9, s2, v1
	v_add_u32_e32 v8, v9, v8
	v_mul_lo_u32 v9, s3, v1
	v_add_u32_e32 v12, v8, v9
	v_mul_hi_u32 v14, v5, v10
	v_mul_lo_u32 v15, v5, v10
	v_mul_hi_u32 v9, v1, v12
	v_mul_lo_u32 v8, v1, v12
	v_mul_hi_u32 v10, v1, v10
	v_mov_b32_e32 v11, v4
	v_lshl_add_u64 v[8:9], v[10:11], 0, v[8:9]
	v_add_co_u32_e32 v8, vcc, v8, v15
	v_mul_hi_u32 v13, v5, v12
	s_nop 0
	v_addc_co_u32_e32 v8, vcc, v9, v14, vcc
	v_mul_lo_u32 v10, v5, v12
	s_nop 0
	v_addc_co_u32_e32 v11, vcc, 0, v13, vcc
	v_mov_b32_e32 v9, v4
	v_lshl_add_u64 v[8:9], v[8:9], 0, v[10:11]
	v_add_co_u32_e32 v1, vcc, v1, v8
	v_mul_hi_u32 v10, v6, v1
	s_nop 0
	v_addc_co_u32_e32 v5, vcc, v5, v9, vcc
	v_mad_u64_u32 v[8:9], s[2:3], v6, v5, 0
	v_mov_b32_e32 v11, v4
	v_lshl_add_u64 v[8:9], v[10:11], 0, v[8:9]
	v_mad_u64_u32 v[12:13], s[2:3], v7, v1, 0
	v_add_co_u32_e32 v1, vcc, v8, v12
	v_mad_u64_u32 v[10:11], s[2:3], v7, v5, 0
	s_nop 0
	v_addc_co_u32_e32 v8, vcc, v9, v13, vcc
	v_mov_b32_e32 v9, v4
	s_nop 0
	v_addc_co_u32_e32 v11, vcc, 0, v11, vcc
	v_lshl_add_u64 v[8:9], v[8:9], 0, v[10:11]
	v_mul_lo_u32 v1, s19, v8
	v_mul_lo_u32 v5, s18, v9
	v_mad_u64_u32 v[10:11], s[2:3], s18, v8, 0
	v_add3_u32 v1, v11, v5, v1
	v_sub_u32_e32 v5, v7, v1
	v_mov_b32_e32 v11, s19
	v_sub_co_u32_e32 v14, vcc, v6, v10
	v_lshl_add_u64 v[12:13], v[8:9], 0, 1
	s_nop 0
	v_subb_co_u32_e64 v5, s[2:3], v5, v11, vcc
	v_subrev_co_u32_e64 v10, s[2:3], s18, v14
	v_subb_co_u32_e32 v1, vcc, v7, v1, vcc
	s_nop 0
	v_subbrev_co_u32_e64 v5, s[2:3], 0, v5, s[2:3]
	v_cmp_le_u32_e64 s[2:3], s19, v5
	v_cmp_le_u32_e32 vcc, s19, v1
	s_nop 0
	v_cndmask_b32_e64 v11, 0, -1, s[2:3]
	v_cmp_le_u32_e64 s[2:3], s18, v10
	s_nop 1
	v_cndmask_b32_e64 v10, 0, -1, s[2:3]
	v_cmp_eq_u32_e64 s[2:3], s19, v5
	s_nop 1
	v_cndmask_b32_e64 v5, v11, v10, s[2:3]
	v_lshl_add_u64 v[10:11], v[8:9], 0, 2
	v_cmp_ne_u32_e64 s[2:3], 0, v5
	s_nop 1
	v_cndmask_b32_e64 v5, v13, v11, s[2:3]
	v_cndmask_b32_e64 v11, 0, -1, vcc
	v_cmp_le_u32_e32 vcc, s18, v14
	s_nop 1
	v_cndmask_b32_e64 v13, 0, -1, vcc
	v_cmp_eq_u32_e32 vcc, s19, v1
	s_nop 1
	v_cndmask_b32_e32 v1, v11, v13, vcc
	v_cmp_ne_u32_e32 vcc, 0, v1
	v_cndmask_b32_e64 v1, v12, v10, s[2:3]
	s_nop 0
	v_cndmask_b32_e32 v9, v9, v5, vcc
	v_cndmask_b32_e32 v8, v8, v1, vcc
.LBB0_4:                                ;   in Loop: Header=BB0_2 Depth=1
	s_andn2_saveexec_b64 s[2:3], s[20:21]
	s_cbranch_execz .LBB0_6
; %bb.5:                                ;   in Loop: Header=BB0_2 Depth=1
	v_cvt_f32_u32_e32 v1, s18
	s_sub_i32 s20, 0, s18
	v_rcp_iflag_f32_e32 v1, v1
	s_nop 0
	v_mul_f32_e32 v1, 0x4f7ffffe, v1
	v_cvt_u32_f32_e32 v1, v1
	v_mul_lo_u32 v5, s20, v1
	v_mul_hi_u32 v5, v1, v5
	v_add_u32_e32 v1, v1, v5
	v_mul_hi_u32 v1, v6, v1
	v_mul_lo_u32 v5, v1, s18
	v_sub_u32_e32 v5, v6, v5
	v_add_u32_e32 v8, 1, v1
	v_subrev_u32_e32 v9, s18, v5
	v_cmp_le_u32_e32 vcc, s18, v5
	s_nop 1
	v_cndmask_b32_e32 v5, v5, v9, vcc
	v_cndmask_b32_e32 v1, v1, v8, vcc
	v_add_u32_e32 v8, 1, v1
	v_cmp_le_u32_e32 vcc, s18, v5
	v_mov_b32_e32 v9, v4
	s_nop 0
	v_cndmask_b32_e32 v8, v1, v8, vcc
.LBB0_6:                                ;   in Loop: Header=BB0_2 Depth=1
	s_or_b64 exec, exec, s[2:3]
	v_mad_u64_u32 v[10:11], s[2:3], v8, s18, 0
	s_load_dwordx2 s[2:3], s[12:13], 0x0
	v_mul_lo_u32 v1, v9, s18
	v_mul_lo_u32 v5, v8, s19
	v_add3_u32 v1, v11, v5, v1
	v_sub_co_u32_e32 v5, vcc, v6, v10
	s_add_u32 s14, s14, 1
	s_nop 0
	v_subb_co_u32_e32 v1, vcc, v7, v1, vcc
	s_addc_u32 s15, s15, 0
	s_waitcnt lgkmcnt(0)
	v_mul_lo_u32 v1, s2, v1
	v_mul_lo_u32 v6, s3, v5
	v_mad_u64_u32 v[2:3], s[2:3], s2, v5, v[2:3]
	s_add_u32 s12, s12, 8
	v_add3_u32 v3, v6, v3, v1
	s_addc_u32 s13, s13, 0
	v_mov_b64_e32 v[6:7], s[6:7]
	s_add_u32 s16, s16, 8
	v_cmp_ge_u64_e32 vcc, s[14:15], v[6:7]
	s_addc_u32 s17, s17, 0
	s_cbranch_vccnz .LBB0_9
; %bb.7:                                ;   in Loop: Header=BB0_2 Depth=1
	v_mov_b64_e32 v[6:7], v[8:9]
	s_branch .LBB0_2
.LBB0_8:
	v_mov_b64_e32 v[8:9], v[6:7]
.LBB0_9:
	s_lshl_b64 s[2:3], s[6:7], 3
	s_add_u32 s2, s10, s2
	s_addc_u32 s3, s11, s3
	s_load_dwordx2 s[6:7], s[2:3], 0x0
	s_load_dwordx2 s[10:11], s[0:1], 0x20
	v_mov_b32_e32 v15, 0
                                        ; implicit-def: $vgpr16
                                        ; implicit-def: $vgpr5
                                        ; implicit-def: $vgpr17
                                        ; implicit-def: $vgpr6
                                        ; implicit-def: $vgpr18
                                        ; implicit-def: $vgpr7
                                        ; implicit-def: $vgpr19
                                        ; implicit-def: $vgpr20
                                        ; implicit-def: $vgpr25
                                        ; implicit-def: $vgpr14
                                        ; implicit-def: $vgpr21
                                        ; implicit-def: $vgpr13
                                        ; implicit-def: $vgpr22
                                        ; implicit-def: $vgpr12
                                        ; implicit-def: $vgpr23
                                        ; implicit-def: $vgpr11
                                        ; implicit-def: $vgpr24
                                        ; implicit-def: $vgpr10
	s_waitcnt lgkmcnt(0)
	v_mad_u64_u32 v[2:3], s[0:1], s6, v8, v[2:3]
	v_mul_lo_u32 v1, s6, v9
	v_mul_lo_u32 v4, s7, v8
	s_mov_b32 s0, 0x4a7904b
	v_add3_u32 v3, v4, v3, v1
	v_mul_hi_u32 v1, v0, s0
	v_mul_u32_u24_e32 v1, 55, v1
	v_cmp_gt_u64_e32 vcc, s[10:11], v[8:9]
	v_sub_u32_e32 v0, v0, v1
	v_mov_b32_e32 v4, 0
	v_mov_b32_e32 v1, 0
                                        ; implicit-def: $vgpr8
                                        ; implicit-def: $vgpr9
	s_and_saveexec_b64 s[2:3], vcc
	s_cbranch_execz .LBB0_13
; %bb.10:
	v_cmp_gt_u32_e64 s[0:1], 25, v0
	v_mov_b32_e32 v1, 0
	v_mov_b32_e32 v15, 0
                                        ; implicit-def: $vgpr10
                                        ; implicit-def: $vgpr24
                                        ; implicit-def: $vgpr11
                                        ; implicit-def: $vgpr23
                                        ; implicit-def: $vgpr12
                                        ; implicit-def: $vgpr22
                                        ; implicit-def: $vgpr13
                                        ; implicit-def: $vgpr21
                                        ; implicit-def: $vgpr14
                                        ; implicit-def: $vgpr25
                                        ; implicit-def: $vgpr9
                                        ; implicit-def: $vgpr20
                                        ; implicit-def: $vgpr8
                                        ; implicit-def: $vgpr19
                                        ; implicit-def: $vgpr7
                                        ; implicit-def: $vgpr18
                                        ; implicit-def: $vgpr6
                                        ; implicit-def: $vgpr17
                                        ; implicit-def: $vgpr5
                                        ; implicit-def: $vgpr16
	s_and_saveexec_b64 s[6:7], s[0:1]
	s_cbranch_execz .LBB0_12
; %bb.11:
	v_mov_b32_e32 v1, 0
	v_lshl_add_u64 v[4:5], v[2:3], 2, s[8:9]
	v_lshl_add_u64 v[16:17], v[0:1], 2, v[4:5]
	global_load_dword v1, v[16:17], off
	global_load_dword v5, v[16:17], off offset:100
	global_load_dword v6, v[16:17], off offset:200
	;; [unrolled: 1-line block ×10, first 2 shown]
	s_waitcnt vmcnt(10)
	v_lshrrev_b32_e32 v15, 16, v1
	s_waitcnt vmcnt(9)
	v_lshrrev_b32_e32 v16, 16, v5
	;; [unrolled: 2-line block ×11, first 2 shown]
.LBB0_12:
	s_or_b64 exec, exec, s[6:7]
	v_mov_b32_e32 v4, v0
.LBB0_13:
	s_or_b64 exec, exec, s[2:3]
	v_cmp_gt_u32_e64 s[0:1], 25, v0
	s_and_saveexec_b64 s[2:3], s[0:1]
	s_cbranch_execz .LBB0_15
; %bb.14:
	v_sub_f16_e32 v27, v5, v14
	v_add_f16_e32 v26, v16, v25
	v_mul_f16_e32 v28, 0xb482, v27
	s_mov_b32 s0, 0xbbad
	v_sub_f16_e32 v31, v6, v13
	v_fma_f16 v29, v26, s0, -v28
	v_add_f16_e32 v30, v17, v21
	v_mul_f16_e32 v32, 0x3853, v31
	s_movk_i32 s1, 0x3abb
	v_add_f16_e32 v29, v15, v29
	v_fma_f16 v33, v30, s1, -v32
	v_sub_f16_e32 v34, v7, v12
	v_add_f16_e32 v29, v29, v33
	v_add_f16_e32 v33, v18, v22
	v_mul_f16_e32 v35, 0xba0c, v34
	s_mov_b32 s6, 0xb93d
	v_fma_f16 v36, v33, s6, -v35
	v_sub_f16_e32 v37, v8, v11
	v_add_f16_e32 v29, v29, v36
	v_add_f16_e32 v36, v19, v23
	v_mul_f16_e32 v38, 0x3b47, v37
	s_movk_i32 s7, 0x36a6
	v_fma_f16 v39, v36, s7, -v38
	v_sub_f16_e32 v40, v9, v10
	v_add_f16_e32 v29, v29, v39
	v_add_f16_e32 v39, v20, v24
	v_mul_f16_e32 v41, 0xbbeb, v40
	s_mov_b32 s10, 0xb08e
	v_fma_f16 v42, v39, s10, -v41
	v_sub_f16_e32 v43, v16, v25
	v_add_f16_e32 v29, v29, v42
	v_add_f16_e32 v42, v5, v14
	v_mul_f16_e32 v44, 0xb482, v43
	v_sub_f16_e32 v47, v17, v21
	v_fma_f16 v45, v42, s0, v44
	v_add_f16_e32 v46, v6, v13
	v_mul_f16_e32 v48, 0x3853, v47
	v_add_f16_e32 v45, v1, v45
	v_fma_f16 v49, v46, s1, v48
	v_sub_f16_e32 v50, v18, v22
	v_add_f16_e32 v45, v45, v49
	v_add_f16_e32 v49, v7, v12
	v_mul_f16_e32 v51, 0xba0c, v50
	v_fma_f16 v52, v49, s6, v51
	v_sub_f16_e32 v53, v19, v23
	v_add_f16_e32 v45, v45, v52
	v_add_f16_e32 v52, v8, v11
	v_mul_f16_e32 v54, 0x3b47, v53
	;; [unrolled: 5-line block ×3, first 2 shown]
	v_fma_f16 v58, v55, s10, v57
	v_add_f16_e32 v45, v45, v58
	v_mul_f16_e32 v58, 0xba0c, v27
	v_fma_f16 v59, v26, s6, -v58
	v_mul_f16_e32 v60, 0x3beb, v31
	v_add_f16_e32 v59, v15, v59
	v_fma_f16 v61, v30, s10, -v60
	v_add_f16_e32 v59, v59, v61
	v_mul_f16_e32 v61, 0xb853, v34
	v_fma_f16 v62, v33, s1, -v61
	v_add_f16_e32 v59, v59, v62
	v_mul_f16_e32 v62, 0xb482, v37
	v_fma_f16 v63, v36, s0, -v62
	v_add_f16_e32 v59, v59, v63
	v_mul_f16_e32 v63, 0x3b47, v40
	v_fma_f16 v64, v39, s7, -v63
	v_add_f16_e32 v59, v59, v64
	v_mul_f16_e32 v64, 0xba0c, v43
	v_fma_f16 v65, v42, s6, v64
	v_mul_f16_e32 v66, 0x3beb, v47
	v_add_f16_e32 v65, v1, v65
	v_fma_f16 v67, v46, s10, v66
	v_add_f16_e32 v65, v65, v67
	v_mul_f16_e32 v67, 0xb853, v50
	v_fma_f16 v68, v49, s1, v67
	v_add_f16_e32 v65, v65, v68
	v_mul_f16_e32 v68, 0xb482, v53
	;; [unrolled: 3-line block ×4, first 2 shown]
	v_fma_f16 v71, v26, s10, -v70
	v_mul_f16_e32 v72, 0x3482, v31
	v_add_f16_e32 v71, v15, v71
	v_fma_f16 v73, v30, s0, -v72
	v_add_f16_e32 v71, v71, v73
	v_mul_f16_e32 v73, 0x3b47, v34
	v_fma_f16 v74, v33, s7, -v73
	v_add_f16_e32 v71, v71, v74
	v_mul_f16_e32 v74, 0xb853, v37
	v_fma_f16 v75, v36, s1, -v74
	v_fma_f16 v28, v26, s0, v28
	v_add_f16_e32 v71, v71, v75
	v_mul_f16_e32 v75, 0xba0c, v40
	v_add_f16_e32 v28, v15, v28
	v_fma_f16 v32, v30, s1, v32
	v_fma_f16 v76, v39, s6, -v75
	v_add_f16_e32 v28, v28, v32
	v_fma_f16 v32, v33, s6, v35
	v_add_f16_e32 v71, v71, v76
	v_mul_f16_e32 v76, 0xbbeb, v43
	v_add_f16_e32 v28, v28, v32
	v_fma_f16 v32, v36, s7, v38
	v_fma_f16 v77, v42, s10, v76
	v_mul_f16_e32 v78, 0x3482, v47
	v_add_f16_e32 v28, v28, v32
	v_fma_f16 v32, v39, s10, v41
	v_add_f16_e32 v77, v1, v77
	v_fma_f16 v79, v46, s0, v78
	v_add_f16_e32 v28, v28, v32
	v_fma_f16 v32, v42, s0, -v44
	v_add_f16_e32 v77, v77, v79
	v_mul_f16_e32 v79, 0x3b47, v50
	v_add_f16_e32 v32, v1, v32
	v_fma_f16 v35, v46, s1, -v48
	v_fma_f16 v80, v49, s7, v79
	v_add_f16_e32 v32, v32, v35
	v_fma_f16 v35, v49, s6, -v51
	v_add_f16_e32 v77, v77, v80
	v_mul_f16_e32 v80, 0xb853, v53
	v_add_f16_e32 v32, v32, v35
	v_fma_f16 v35, v52, s7, -v54
	v_fma_f16 v81, v52, s1, v80
	v_add_f16_e32 v32, v32, v35
	v_fma_f16 v35, v55, s10, -v57
	v_add_f16_e32 v77, v77, v81
	v_mul_f16_e32 v81, 0xba0c, v56
	v_add_f16_e32 v32, v32, v35
	v_fma_f16 v35, v26, s6, v58
	v_fma_f16 v82, v55, s6, v81
	v_add_f16_e32 v35, v15, v35
	v_fma_f16 v38, v30, s10, v60
	v_add_f16_e32 v77, v77, v82
	v_mul_f16_e32 v82, 0xbb47, v27
	v_add_f16_e32 v35, v35, v38
	v_fma_f16 v38, v33, s1, v61
	v_fma_f16 v83, v26, s7, -v82
	v_mul_f16_e32 v84, 0xba0c, v31
	v_add_f16_e32 v35, v35, v38
	v_fma_f16 v38, v36, s0, v62
	v_add_f16_e32 v83, v15, v83
	v_fma_f16 v85, v30, s6, -v84
	v_add_f16_e32 v35, v35, v38
	v_fma_f16 v38, v39, s7, v63
	v_add_f16_e32 v83, v83, v85
	v_mul_f16_e32 v85, 0x3482, v34
	v_add_f16_e32 v35, v35, v38
	v_fma_f16 v38, v42, s6, -v64
	v_fma_f16 v86, v33, s0, -v85
	v_add_f16_e32 v38, v1, v38
	v_fma_f16 v41, v46, s10, -v66
	v_add_f16_e32 v83, v83, v86
	v_mul_f16_e32 v86, 0x3beb, v37
	v_add_f16_e32 v38, v38, v41
	v_fma_f16 v41, v49, s1, -v67
	v_fma_f16 v87, v36, s10, -v86
	v_add_f16_e32 v38, v38, v41
	v_fma_f16 v41, v52, s0, -v68
	v_add_f16_e32 v83, v83, v87
	v_mul_f16_e32 v87, 0x3853, v40
	v_add_f16_e32 v38, v38, v41
	v_fma_f16 v41, v55, s7, -v69
	v_fma_f16 v88, v39, s1, -v87
	v_add_f16_e32 v38, v38, v41
	v_fma_f16 v41, v26, s10, v70
	v_add_f16_e32 v83, v83, v88
	v_mul_f16_e32 v88, 0xbb47, v43
	v_add_f16_e32 v41, v15, v41
	v_fma_f16 v44, v30, s0, v72
	v_fma_f16 v89, v42, s7, v88
	v_mul_f16_e32 v90, 0xba0c, v47
	v_add_f16_e32 v41, v41, v44
	v_fma_f16 v44, v33, s7, v73
	v_add_f16_e32 v89, v1, v89
	v_fma_f16 v91, v46, s6, v90
	;; [unrolled: 2-line block ×3, first 2 shown]
	v_add_f16_e32 v89, v89, v91
	v_mul_f16_e32 v91, 0x3482, v50
	v_add_f16_e32 v41, v41, v44
	v_fma_f16 v44, v39, s6, v75
	v_fma_f16 v92, v49, s0, v91
	v_add_f16_e32 v41, v41, v44
	v_fma_f16 v44, v42, s10, -v76
	v_add_f16_e32 v89, v89, v92
	v_mul_f16_e32 v92, 0x3beb, v53
	v_add_f16_e32 v44, v1, v44
	v_fma_f16 v48, v46, s0, -v78
	v_fma_f16 v93, v52, s10, v92
	v_add_f16_e32 v44, v44, v48
	v_fma_f16 v48, v49, s7, -v79
	v_add_f16_e32 v89, v89, v93
	v_mul_f16_e32 v93, 0x3853, v56
	v_add_f16_e32 v44, v44, v48
	v_fma_f16 v48, v52, s1, -v80
	v_fma_f16 v94, v55, s1, v93
	v_mul_f16_e32 v27, 0xb853, v27
	v_add_f16_e32 v44, v44, v48
	v_fma_f16 v48, v55, s6, -v81
	v_add_f16_e32 v89, v89, v94
	v_fma_f16 v94, v26, s1, -v27
	v_mul_f16_e32 v31, 0xbb47, v31
	v_add_f16_e32 v44, v44, v48
	v_fma_f16 v48, v26, s7, v82
	v_fma_f16 v26, v26, s1, v27
	v_add_f16_e32 v94, v15, v94
	v_fma_f16 v95, v30, s7, -v31
	v_mul_f16_e32 v34, 0xbbeb, v34
	v_add_f16_e32 v48, v15, v48
	v_fma_f16 v51, v30, s6, v84
	v_fma_f16 v27, v30, s7, v31
	v_add_f16_e32 v26, v15, v26
	v_add_f16_e32 v94, v94, v95
	v_fma_f16 v95, v33, s10, -v34
	v_mul_f16_e32 v37, 0xba0c, v37
	v_add_f16_e32 v48, v48, v51
	v_fma_f16 v51, v33, s0, v85
	v_add_f16_e32 v26, v26, v27
	v_fma_f16 v27, v33, s10, v34
	v_add_f16_e32 v94, v94, v95
	v_fma_f16 v95, v36, s6, -v37
	v_mul_f16_e32 v40, 0xb482, v40
	v_add_f16_e32 v48, v48, v51
	v_fma_f16 v51, v36, s10, v86
	v_add_f16_e32 v26, v26, v27
	v_fma_f16 v27, v36, s6, v37
	;; [unrolled: 7-line block ×3, first 2 shown]
	v_add_f16_e32 v94, v94, v95
	v_fma_f16 v95, v42, s1, v43
	v_add_f16_e32 v48, v48, v51
	v_fma_f16 v51, v42, s7, -v88
	v_add_f16_e32 v26, v26, v27
	v_fma_f16 v27, v42, s1, -v43
	v_add_f16_e32 v95, v1, v95
	v_add_f16_e32 v51, v1, v51
	;; [unrolled: 1-line block ×13, first 2 shown]
	v_mul_f16_e32 v47, 0xbb47, v47
	v_add_f16_e32 v15, v15, v24
	v_add_f16_e32 v1, v1, v10
	v_fma_f16 v96, v46, s7, v47
	v_mul_f16_e32 v50, 0xbbeb, v50
	v_add_f16_e32 v15, v23, v15
	v_add_f16_e32 v1, v11, v1
	v_add_f16_e32 v95, v95, v96
	v_fma_f16 v96, v49, s10, v50
	v_mul_f16_e32 v53, 0xba0c, v53
	v_add_f16_e32 v15, v22, v15
	;; [unrolled: 5-line block ×3, first 2 shown]
	v_add_f16_e32 v1, v13, v1
	v_add_f16_e32 v95, v95, v96
	v_fma_f16 v96, v55, s0, v56
	v_add_f16_sdwa v15, v25, v15 dst_sel:WORD_1 dst_unused:UNUSED_PAD src0_sel:DWORD src1_sel:DWORD
	v_add_f16_e32 v1, v14, v1
	v_add_f16_e32 v95, v95, v96
	v_fma_f16 v54, v46, s6, -v90
	v_fma_f16 v30, v46, s7, -v47
	v_or_b32_e32 v1, v15, v1
	v_mad_u32_u24 v5, v0, 44, 0
	v_add_f16_e32 v51, v51, v54
	v_fma_f16 v54, v49, s0, -v91
	v_add_f16_e32 v27, v27, v30
	v_fma_f16 v30, v49, s10, -v50
	ds_write_b32 v5, v1
	v_pack_b32_f16 v1, v89, v83
	v_pack_b32_f16 v6, v95, v94
	v_add_f16_e32 v51, v51, v54
	v_fma_f16 v54, v52, s10, -v92
	v_add_f16_e32 v27, v27, v30
	v_fma_f16 v30, v52, s6, -v53
	ds_write2_b32 v5, v6, v1 offset0:1 offset1:2
	v_pack_b32_f16 v1, v65, v59
	v_pack_b32_f16 v6, v77, v71
	v_add_f16_e32 v51, v51, v54
	v_fma_f16 v54, v55, s1, -v93
	v_add_f16_e32 v27, v27, v30
	v_fma_f16 v30, v55, s0, -v56
	ds_write2_b32 v5, v6, v1 offset0:3 offset1:4
	v_pack_b32_f16 v1, v32, v28
	v_pack_b32_f16 v6, v45, v29
	v_add_f16_e32 v51, v51, v54
	v_add_f16_e32 v27, v27, v30
	ds_write2_b32 v5, v6, v1 offset0:5 offset1:6
	v_pack_b32_f16 v1, v44, v41
	v_pack_b32_f16 v6, v38, v35
	ds_write2_b32 v5, v6, v1 offset0:7 offset1:8
	v_pack_b32_f16 v1, v27, v26
	v_pack_b32_f16 v6, v51, v48
	ds_write2_b32 v5, v6, v1 offset0:9 offset1:10
.LBB0_15:
	s_or_b64 exec, exec, s[2:3]
	s_movk_i32 s0, 0x75
	v_mul_lo_u16_sdwa v1, v0, s0 dst_sel:DWORD dst_unused:UNUSED_PAD src0_sel:BYTE_0 src1_sel:DWORD
	v_sub_u16_sdwa v5, v0, v1 dst_sel:DWORD dst_unused:UNUSED_PAD src0_sel:DWORD src1_sel:BYTE_1
	v_lshrrev_b16_e32 v5, 1, v5
	v_and_b32_e32 v5, 0x7f, v5
	v_add_u16_sdwa v1, v5, v1 dst_sel:DWORD dst_unused:UNUSED_PAD src0_sel:DWORD src1_sel:BYTE_1
	v_lshrrev_b16_e32 v5, 3, v1
	v_mul_lo_u16_e32 v1, 11, v5
	v_sub_u16_e32 v14, v0, v1
	v_mov_b32_e32 v1, 4
	v_lshlrev_b32_sdwa v1, v1, v14 dst_sel:DWORD dst_unused:UNUSED_PAD src0_sel:DWORD src1_sel:BYTE_0
	s_waitcnt lgkmcnt(0)
	; wave barrier
	s_waitcnt lgkmcnt(0)
	global_load_dwordx4 v[6:9], v1, s[4:5]
	v_lshl_add_u32 v1, v0, 2, 0
	ds_read2_b32 v[10:11], v1 offset1:55
	ds_read2_b32 v[12:13], v1 offset0:110 offset1:165
	ds_read_u16 v16, v1 offset:2
	ds_read_b32 v17, v1 offset:880
	v_mov_b32_e32 v15, 2
	s_waitcnt lgkmcnt(3)
	v_lshrrev_b32_e32 v18, 16, v11
	s_waitcnt lgkmcnt(2)
	v_lshrrev_b32_e32 v19, 16, v12
	v_lshrrev_b32_e32 v20, 16, v13
	s_waitcnt lgkmcnt(0)
	v_lshrrev_b32_e32 v21, 16, v17
	v_lshlrev_b32_sdwa v14, v15, v14 dst_sel:DWORD dst_unused:UNUSED_PAD src0_sel:DWORD src1_sel:BYTE_0
	s_mov_b32 s2, 0xbb9c
	s_movk_i32 s6, 0x3b9c
	s_mov_b32 s1, 0xb8b4
	s_movk_i32 s3, 0x38b4
	s_movk_i32 s0, 0x34f2
	v_mul_u32_u24_e32 v5, 0xdc, v5
	v_add3_u32 v5, 0, v5, v14
	s_waitcnt lgkmcnt(0)
	; wave barrier
	s_waitcnt vmcnt(0)
	v_mul_f16_sdwa v15, v6, v18 dst_sel:DWORD dst_unused:UNUSED_PAD src0_sel:WORD_1 src1_sel:DWORD
	v_mul_f16_sdwa v22, v6, v11 dst_sel:DWORD dst_unused:UNUSED_PAD src0_sel:WORD_1 src1_sel:DWORD
	v_mul_f16_sdwa v23, v7, v19 dst_sel:DWORD dst_unused:UNUSED_PAD src0_sel:WORD_1 src1_sel:DWORD
	v_mul_f16_sdwa v24, v7, v12 dst_sel:DWORD dst_unused:UNUSED_PAD src0_sel:WORD_1 src1_sel:DWORD
	v_mul_f16_sdwa v25, v8, v20 dst_sel:DWORD dst_unused:UNUSED_PAD src0_sel:WORD_1 src1_sel:DWORD
	v_mul_f16_sdwa v26, v8, v13 dst_sel:DWORD dst_unused:UNUSED_PAD src0_sel:WORD_1 src1_sel:DWORD
	v_mul_f16_sdwa v27, v9, v21 dst_sel:DWORD dst_unused:UNUSED_PAD src0_sel:WORD_1 src1_sel:DWORD
	v_mul_f16_sdwa v28, v9, v17 dst_sel:DWORD dst_unused:UNUSED_PAD src0_sel:WORD_1 src1_sel:DWORD
	v_fma_f16 v11, v6, v11, v15
	v_fma_f16 v6, v6, v18, -v22
	v_fma_f16 v12, v7, v12, v23
	v_fma_f16 v7, v7, v19, -v24
	;; [unrolled: 2-line block ×4, first 2 shown]
	v_add_f16_e32 v17, v11, v10
	v_add_f16_e32 v18, v12, v13
	v_sub_f16_e32 v21, v11, v12
	v_sub_f16_e32 v22, v15, v13
	v_add_f16_e32 v26, v16, v6
	v_add_f16_e32 v27, v7, v8
	v_sub_f16_e32 v19, v6, v9
	v_sub_f16_e32 v20, v7, v8
	v_add_f16_e32 v23, v11, v15
	v_sub_f16_e32 v24, v12, v11
	v_sub_f16_e32 v11, v11, v15
	;; [unrolled: 1-line block ×4, first 2 shown]
	v_add_f16_e32 v31, v6, v9
	v_sub_f16_e32 v6, v7, v6
	v_add_f16_e32 v12, v17, v12
	v_fma_f16 v17, v18, -0.5, v10
	v_add_f16_e32 v18, v21, v22
	v_add_f16_e32 v7, v26, v7
	v_fma_f16 v22, v27, -0.5, v16
	v_sub_f16_e32 v25, v13, v15
	v_sub_f16_e32 v30, v9, v8
	;; [unrolled: 1-line block ×3, first 2 shown]
	v_fma_f16 v10, v23, -0.5, v10
	v_fma_f16 v16, v31, -0.5, v16
	v_add_f16_e32 v12, v12, v13
	v_fma_f16 v13, v19, s2, v17
	v_add_f16_e32 v7, v7, v8
	v_fma_f16 v8, v11, s6, v22
	v_add_f16_e32 v21, v24, v25
	v_add_f16_e32 v23, v29, v30
	v_fma_f16 v17, v19, s6, v17
	v_fma_f16 v24, v20, s6, v10
	;; [unrolled: 1-line block ×8, first 2 shown]
	v_add_f16_e32 v12, v12, v15
	v_fma_f16 v15, v20, s3, v17
	v_fma_f16 v17, v19, s1, v24
	v_fma_f16 v10, v19, s3, v10
	v_add_f16_e32 v7, v7, v9
	v_fma_f16 v19, v11, s3, v25
	v_fma_f16 v13, v18, s0, v13
	v_fma_f16 v8, v23, s0, v8
	;; [unrolled: 4-line block ×3, first 2 shown]
	v_fma_f16 v17, v21, s0, v17
	v_fma_f16 v10, v21, s0, v10
	;; [unrolled: 1-line block ×4, first 2 shown]
	v_pack_b32_f16 v7, v12, v7
	v_pack_b32_f16 v8, v13, v8
	v_fma_f16 v9, v23, s0, v9
	ds_write2_b32 v5, v7, v8 offset1:11
	v_pack_b32_f16 v7, v17, v18
	v_pack_b32_f16 v6, v10, v6
	ds_write2_b32 v5, v7, v6 offset0:22 offset1:33
	v_pack_b32_f16 v6, v15, v9
	ds_write_b32 v5, v6 offset:176
	s_waitcnt lgkmcnt(0)
	; wave barrier
	s_waitcnt lgkmcnt(0)
	s_and_saveexec_b64 s[10:11], vcc
	s_cbranch_execz .LBB0_17
; %bb.16:
	v_lshlrev_b32_e32 v10, 2, v0
	v_mov_b32_e32 v11, 0
	v_lshl_add_u64 v[6:7], v[10:11], 2, s[4:5]
	global_load_dwordx4 v[6:9], v[6:7], off offset:176
	ds_read2_b32 v[12:13], v1 offset1:55
	ds_read2_b32 v[14:15], v1 offset0:110 offset1:165
	ds_read_b32 v10, v1 offset:880
	ds_read_u16 v16, v1 offset:2
	v_lshl_add_u64 v[0:1], v[2:3], 2, s[8:9]
	v_mov_b32_e32 v5, v11
	v_lshl_add_u64 v[0:1], v[4:5], 2, v[0:1]
	s_waitcnt lgkmcnt(3)
	v_lshrrev_b32_e32 v2, 16, v13
	s_waitcnt lgkmcnt(2)
	v_lshrrev_b32_e32 v3, 16, v14
	;; [unrolled: 2-line block ×3, first 2 shown]
	v_lshrrev_b32_e32 v5, 16, v15
	s_waitcnt vmcnt(0)
	v_mul_f16_sdwa v11, v6, v13 dst_sel:DWORD dst_unused:UNUSED_PAD src0_sel:WORD_1 src1_sel:DWORD
	v_mul_f16_sdwa v17, v7, v14 dst_sel:DWORD dst_unused:UNUSED_PAD src0_sel:WORD_1 src1_sel:DWORD
	;; [unrolled: 1-line block ×8, first 2 shown]
	v_fma_f16 v2, v6, v2, -v11
	v_fma_f16 v3, v7, v3, -v17
	;; [unrolled: 1-line block ×4, first 2 shown]
	v_fma_f16 v6, v6, v13, v20
	v_fma_f16 v9, v9, v10, v21
	;; [unrolled: 1-line block ×4, first 2 shown]
	v_sub_f16_e32 v10, v2, v3
	v_sub_f16_e32 v11, v4, v5
	v_add_f16_e32 v13, v3, v5
	v_sub_f16_e32 v14, v6, v9
	v_sub_f16_e32 v17, v6, v7
	;; [unrolled: 1-line block ×3, first 2 shown]
	v_add_f16_e32 v19, v7, v8
	v_sub_f16_e32 v20, v2, v4
	v_sub_f16_e32 v22, v3, v2
	v_add_f16_e32 v24, v2, v4
	v_sub_f16_e32 v25, v7, v6
	v_add_f16_e32 v27, v6, v9
	s_waitcnt lgkmcnt(0)
	v_add_f16_e32 v2, v2, v16
	v_add_f16_e32 v6, v6, v12
	v_sub_f16_e32 v21, v3, v5
	v_add_f16_e32 v10, v10, v11
	v_fma_f16 v11, v13, -0.5, v16
	v_add_f16_e32 v13, v17, v18
	v_fma_f16 v17, v19, -0.5, v12
	v_add_f16_e32 v2, v3, v2
	v_add_f16_e32 v3, v7, v6
	v_sub_f16_e32 v15, v7, v8
	v_sub_f16_e32 v23, v5, v4
	v_fma_f16 v16, v24, -0.5, v16
	v_fma_f16 v12, v27, -0.5, v12
	v_fma_f16 v6, v14, s2, v11
	v_fma_f16 v7, v20, s6, v17
	;; [unrolled: 1-line block ×4, first 2 shown]
	v_add_f16_e32 v2, v2, v5
	v_add_f16_e32 v3, v8, v3
	v_sub_f16_e32 v26, v8, v9
	v_add_f16_e32 v18, v22, v23
	v_fma_f16 v22, v15, s6, v16
	v_fma_f16 v23, v21, s2, v12
	v_fma_f16 v16, v15, s2, v16
	v_fma_f16 v12, v21, s6, v12
	v_fma_f16 v5, v15, s1, v6
	v_fma_f16 v11, v15, s3, v11
	v_fma_f16 v15, v21, s1, v17
	v_add_f16_e32 v2, v4, v2
	v_add_f16_e32 v3, v9, v3
	;; [unrolled: 1-line block ×3, first 2 shown]
	v_fma_f16 v6, v21, s3, v7
	v_fma_f16 v7, v14, s1, v22
	;; [unrolled: 1-line block ×8, first 2 shown]
	v_pack_b32_f16 v2, v3, v2
	v_fma_f16 v5, v13, s0, v6
	v_fma_f16 v6, v18, s0, v7
	;; [unrolled: 1-line block ×5, first 2 shown]
	global_store_dword v[0:1], v2, off
	v_pack_b32_f16 v2, v11, v10
	global_store_dword v[0:1], v2, off offset:220
	v_pack_b32_f16 v2, v9, v8
	global_store_dword v[0:1], v2, off offset:440
	;; [unrolled: 2-line block ×4, first 2 shown]
.LBB0_17:
	s_endpgm
	.section	.rodata,"a",@progbits
	.p2align	6, 0x0
	.amdhsa_kernel fft_rtc_back_len275_factors_11_5_5_wgs_55_tpt_55_half_ip_CI_unitstride_sbrr_dirReg
		.amdhsa_group_segment_fixed_size 0
		.amdhsa_private_segment_fixed_size 0
		.amdhsa_kernarg_size 88
		.amdhsa_user_sgpr_count 2
		.amdhsa_user_sgpr_dispatch_ptr 0
		.amdhsa_user_sgpr_queue_ptr 0
		.amdhsa_user_sgpr_kernarg_segment_ptr 1
		.amdhsa_user_sgpr_dispatch_id 0
		.amdhsa_user_sgpr_kernarg_preload_length 0
		.amdhsa_user_sgpr_kernarg_preload_offset 0
		.amdhsa_user_sgpr_private_segment_size 0
		.amdhsa_uses_dynamic_stack 0
		.amdhsa_enable_private_segment 0
		.amdhsa_system_sgpr_workgroup_id_x 1
		.amdhsa_system_sgpr_workgroup_id_y 0
		.amdhsa_system_sgpr_workgroup_id_z 0
		.amdhsa_system_sgpr_workgroup_info 0
		.amdhsa_system_vgpr_workitem_id 0
		.amdhsa_next_free_vgpr 97
		.amdhsa_next_free_sgpr 22
		.amdhsa_accum_offset 100
		.amdhsa_reserve_vcc 1
		.amdhsa_float_round_mode_32 0
		.amdhsa_float_round_mode_16_64 0
		.amdhsa_float_denorm_mode_32 3
		.amdhsa_float_denorm_mode_16_64 3
		.amdhsa_dx10_clamp 1
		.amdhsa_ieee_mode 1
		.amdhsa_fp16_overflow 0
		.amdhsa_tg_split 0
		.amdhsa_exception_fp_ieee_invalid_op 0
		.amdhsa_exception_fp_denorm_src 0
		.amdhsa_exception_fp_ieee_div_zero 0
		.amdhsa_exception_fp_ieee_overflow 0
		.amdhsa_exception_fp_ieee_underflow 0
		.amdhsa_exception_fp_ieee_inexact 0
		.amdhsa_exception_int_div_zero 0
	.end_amdhsa_kernel
	.text
.Lfunc_end0:
	.size	fft_rtc_back_len275_factors_11_5_5_wgs_55_tpt_55_half_ip_CI_unitstride_sbrr_dirReg, .Lfunc_end0-fft_rtc_back_len275_factors_11_5_5_wgs_55_tpt_55_half_ip_CI_unitstride_sbrr_dirReg
                                        ; -- End function
	.section	.AMDGPU.csdata,"",@progbits
; Kernel info:
; codeLenInByte = 4804
; NumSgprs: 28
; NumVgprs: 97
; NumAgprs: 0
; TotalNumVgprs: 97
; ScratchSize: 0
; MemoryBound: 0
; FloatMode: 240
; IeeeMode: 1
; LDSByteSize: 0 bytes/workgroup (compile time only)
; SGPRBlocks: 3
; VGPRBlocks: 12
; NumSGPRsForWavesPerEU: 28
; NumVGPRsForWavesPerEU: 97
; AccumOffset: 100
; Occupancy: 4
; WaveLimiterHint : 1
; COMPUTE_PGM_RSRC2:SCRATCH_EN: 0
; COMPUTE_PGM_RSRC2:USER_SGPR: 2
; COMPUTE_PGM_RSRC2:TRAP_HANDLER: 0
; COMPUTE_PGM_RSRC2:TGID_X_EN: 1
; COMPUTE_PGM_RSRC2:TGID_Y_EN: 0
; COMPUTE_PGM_RSRC2:TGID_Z_EN: 0
; COMPUTE_PGM_RSRC2:TIDIG_COMP_CNT: 0
; COMPUTE_PGM_RSRC3_GFX90A:ACCUM_OFFSET: 24
; COMPUTE_PGM_RSRC3_GFX90A:TG_SPLIT: 0
	.text
	.p2alignl 6, 3212836864
	.fill 256, 4, 3212836864
	.type	__hip_cuid_fba24436c775e061,@object ; @__hip_cuid_fba24436c775e061
	.section	.bss,"aw",@nobits
	.globl	__hip_cuid_fba24436c775e061
__hip_cuid_fba24436c775e061:
	.byte	0                               ; 0x0
	.size	__hip_cuid_fba24436c775e061, 1

	.ident	"AMD clang version 19.0.0git (https://github.com/RadeonOpenCompute/llvm-project roc-6.4.0 25133 c7fe45cf4b819c5991fe208aaa96edf142730f1d)"
	.section	".note.GNU-stack","",@progbits
	.addrsig
	.addrsig_sym __hip_cuid_fba24436c775e061
	.amdgpu_metadata
---
amdhsa.kernels:
  - .agpr_count:     0
    .args:
      - .actual_access:  read_only
        .address_space:  global
        .offset:         0
        .size:           8
        .value_kind:     global_buffer
      - .offset:         8
        .size:           8
        .value_kind:     by_value
      - .actual_access:  read_only
        .address_space:  global
        .offset:         16
        .size:           8
        .value_kind:     global_buffer
      - .actual_access:  read_only
        .address_space:  global
        .offset:         24
        .size:           8
        .value_kind:     global_buffer
      - .offset:         32
        .size:           8
        .value_kind:     by_value
      - .actual_access:  read_only
        .address_space:  global
        .offset:         40
        .size:           8
        .value_kind:     global_buffer
      - .actual_access:  read_only
        .address_space:  global
        .offset:         48
        .size:           8
        .value_kind:     global_buffer
      - .offset:         56
        .size:           4
        .value_kind:     by_value
      - .actual_access:  read_only
        .address_space:  global
        .offset:         64
        .size:           8
        .value_kind:     global_buffer
      - .actual_access:  read_only
        .address_space:  global
        .offset:         72
        .size:           8
        .value_kind:     global_buffer
      - .address_space:  global
        .offset:         80
        .size:           8
        .value_kind:     global_buffer
    .group_segment_fixed_size: 0
    .kernarg_segment_align: 8
    .kernarg_segment_size: 88
    .language:       OpenCL C
    .language_version:
      - 2
      - 0
    .max_flat_workgroup_size: 55
    .name:           fft_rtc_back_len275_factors_11_5_5_wgs_55_tpt_55_half_ip_CI_unitstride_sbrr_dirReg
    .private_segment_fixed_size: 0
    .sgpr_count:     28
    .sgpr_spill_count: 0
    .symbol:         fft_rtc_back_len275_factors_11_5_5_wgs_55_tpt_55_half_ip_CI_unitstride_sbrr_dirReg.kd
    .uniform_work_group_size: 1
    .uses_dynamic_stack: false
    .vgpr_count:     97
    .vgpr_spill_count: 0
    .wavefront_size: 64
amdhsa.target:   amdgcn-amd-amdhsa--gfx950
amdhsa.version:
  - 1
  - 2
...

	.end_amdgpu_metadata
